;; amdgpu-corpus repo=ROCm/rocFFT kind=compiled arch=gfx906 opt=O3
	.text
	.amdgcn_target "amdgcn-amd-amdhsa--gfx906"
	.amdhsa_code_object_version 6
	.protected	fft_rtc_back_len252_factors_7_3_3_4_wgs_63_tpt_63_dp_ip_CI_unitstride_sbrr_C2R_dirReg ; -- Begin function fft_rtc_back_len252_factors_7_3_3_4_wgs_63_tpt_63_dp_ip_CI_unitstride_sbrr_C2R_dirReg
	.globl	fft_rtc_back_len252_factors_7_3_3_4_wgs_63_tpt_63_dp_ip_CI_unitstride_sbrr_C2R_dirReg
	.p2align	8
	.type	fft_rtc_back_len252_factors_7_3_3_4_wgs_63_tpt_63_dp_ip_CI_unitstride_sbrr_C2R_dirReg,@function
fft_rtc_back_len252_factors_7_3_3_4_wgs_63_tpt_63_dp_ip_CI_unitstride_sbrr_C2R_dirReg: ; @fft_rtc_back_len252_factors_7_3_3_4_wgs_63_tpt_63_dp_ip_CI_unitstride_sbrr_C2R_dirReg
; %bb.0:
	s_load_dwordx2 s[2:3], s[4:5], 0x50
	s_load_dwordx4 s[8:11], s[4:5], 0x0
	s_load_dwordx2 s[12:13], s[4:5], 0x18
	v_mul_u32_u24_e32 v1, 0x411, v0
	v_add_u32_sdwa v5, s6, v1 dst_sel:DWORD dst_unused:UNUSED_PAD src0_sel:DWORD src1_sel:WORD_1
	v_mov_b32_e32 v3, 0
	s_waitcnt lgkmcnt(0)
	v_cmp_lt_u64_e64 s[0:1], s[10:11], 2
	v_mov_b32_e32 v1, 0
	v_mov_b32_e32 v6, v3
	s_and_b64 vcc, exec, s[0:1]
	v_mov_b32_e32 v2, 0
	s_cbranch_vccnz .LBB0_8
; %bb.1:
	s_load_dwordx2 s[0:1], s[4:5], 0x10
	s_add_u32 s6, s12, 8
	s_addc_u32 s7, s13, 0
	v_mov_b32_e32 v1, 0
	v_mov_b32_e32 v2, 0
	s_waitcnt lgkmcnt(0)
	s_add_u32 s14, s0, 8
	s_addc_u32 s15, s1, 0
	s_mov_b64 s[16:17], 1
.LBB0_2:                                ; =>This Inner Loop Header: Depth=1
	s_load_dwordx2 s[18:19], s[14:15], 0x0
                                        ; implicit-def: $vgpr7_vgpr8
	s_waitcnt lgkmcnt(0)
	v_or_b32_e32 v4, s19, v6
	v_cmp_ne_u64_e32 vcc, 0, v[3:4]
	s_and_saveexec_b64 s[0:1], vcc
	s_xor_b64 s[20:21], exec, s[0:1]
	s_cbranch_execz .LBB0_4
; %bb.3:                                ;   in Loop: Header=BB0_2 Depth=1
	v_cvt_f32_u32_e32 v4, s18
	v_cvt_f32_u32_e32 v7, s19
	s_sub_u32 s0, 0, s18
	s_subb_u32 s1, 0, s19
	v_mac_f32_e32 v4, 0x4f800000, v7
	v_rcp_f32_e32 v4, v4
	v_mul_f32_e32 v4, 0x5f7ffffc, v4
	v_mul_f32_e32 v7, 0x2f800000, v4
	v_trunc_f32_e32 v7, v7
	v_mac_f32_e32 v4, 0xcf800000, v7
	v_cvt_u32_f32_e32 v7, v7
	v_cvt_u32_f32_e32 v4, v4
	v_mul_lo_u32 v8, s0, v7
	v_mul_hi_u32 v9, s0, v4
	v_mul_lo_u32 v11, s1, v4
	v_mul_lo_u32 v10, s0, v4
	v_add_u32_e32 v8, v9, v8
	v_add_u32_e32 v8, v8, v11
	v_mul_hi_u32 v9, v4, v10
	v_mul_lo_u32 v11, v4, v8
	v_mul_hi_u32 v13, v4, v8
	v_mul_hi_u32 v12, v7, v10
	v_mul_lo_u32 v10, v7, v10
	v_mul_hi_u32 v14, v7, v8
	v_add_co_u32_e32 v9, vcc, v9, v11
	v_addc_co_u32_e32 v11, vcc, 0, v13, vcc
	v_mul_lo_u32 v8, v7, v8
	v_add_co_u32_e32 v9, vcc, v9, v10
	v_addc_co_u32_e32 v9, vcc, v11, v12, vcc
	v_addc_co_u32_e32 v10, vcc, 0, v14, vcc
	v_add_co_u32_e32 v8, vcc, v9, v8
	v_addc_co_u32_e32 v9, vcc, 0, v10, vcc
	v_add_co_u32_e32 v4, vcc, v4, v8
	v_addc_co_u32_e32 v7, vcc, v7, v9, vcc
	v_mul_lo_u32 v8, s0, v7
	v_mul_hi_u32 v9, s0, v4
	v_mul_lo_u32 v10, s1, v4
	v_mul_lo_u32 v11, s0, v4
	v_add_u32_e32 v8, v9, v8
	v_add_u32_e32 v8, v8, v10
	v_mul_lo_u32 v12, v4, v8
	v_mul_hi_u32 v13, v4, v11
	v_mul_hi_u32 v14, v4, v8
	;; [unrolled: 1-line block ×3, first 2 shown]
	v_mul_lo_u32 v11, v7, v11
	v_mul_hi_u32 v9, v7, v8
	v_add_co_u32_e32 v12, vcc, v13, v12
	v_addc_co_u32_e32 v13, vcc, 0, v14, vcc
	v_mul_lo_u32 v8, v7, v8
	v_add_co_u32_e32 v11, vcc, v12, v11
	v_addc_co_u32_e32 v10, vcc, v13, v10, vcc
	v_addc_co_u32_e32 v9, vcc, 0, v9, vcc
	v_add_co_u32_e32 v8, vcc, v10, v8
	v_addc_co_u32_e32 v9, vcc, 0, v9, vcc
	v_add_co_u32_e32 v4, vcc, v4, v8
	v_addc_co_u32_e32 v9, vcc, v7, v9, vcc
	v_mad_u64_u32 v[7:8], s[0:1], v5, v9, 0
	v_mul_hi_u32 v10, v5, v4
	v_add_co_u32_e32 v11, vcc, v10, v7
	v_addc_co_u32_e32 v12, vcc, 0, v8, vcc
	v_mad_u64_u32 v[7:8], s[0:1], v6, v4, 0
	v_mad_u64_u32 v[9:10], s[0:1], v6, v9, 0
	v_add_co_u32_e32 v4, vcc, v11, v7
	v_addc_co_u32_e32 v4, vcc, v12, v8, vcc
	v_addc_co_u32_e32 v7, vcc, 0, v10, vcc
	v_add_co_u32_e32 v4, vcc, v4, v9
	v_addc_co_u32_e32 v9, vcc, 0, v7, vcc
	v_mul_lo_u32 v10, s19, v4
	v_mul_lo_u32 v11, s18, v9
	v_mad_u64_u32 v[7:8], s[0:1], s18, v4, 0
	v_add3_u32 v8, v8, v11, v10
	v_sub_u32_e32 v10, v6, v8
	v_mov_b32_e32 v11, s19
	v_sub_co_u32_e32 v7, vcc, v5, v7
	v_subb_co_u32_e64 v10, s[0:1], v10, v11, vcc
	v_subrev_co_u32_e64 v11, s[0:1], s18, v7
	v_subbrev_co_u32_e64 v10, s[0:1], 0, v10, s[0:1]
	v_cmp_le_u32_e64 s[0:1], s19, v10
	v_cndmask_b32_e64 v12, 0, -1, s[0:1]
	v_cmp_le_u32_e64 s[0:1], s18, v11
	v_cndmask_b32_e64 v11, 0, -1, s[0:1]
	v_cmp_eq_u32_e64 s[0:1], s19, v10
	v_cndmask_b32_e64 v10, v12, v11, s[0:1]
	v_add_co_u32_e64 v11, s[0:1], 2, v4
	v_addc_co_u32_e64 v12, s[0:1], 0, v9, s[0:1]
	v_add_co_u32_e64 v13, s[0:1], 1, v4
	v_addc_co_u32_e64 v14, s[0:1], 0, v9, s[0:1]
	v_subb_co_u32_e32 v8, vcc, v6, v8, vcc
	v_cmp_ne_u32_e64 s[0:1], 0, v10
	v_cmp_le_u32_e32 vcc, s19, v8
	v_cndmask_b32_e64 v10, v14, v12, s[0:1]
	v_cndmask_b32_e64 v12, 0, -1, vcc
	v_cmp_le_u32_e32 vcc, s18, v7
	v_cndmask_b32_e64 v7, 0, -1, vcc
	v_cmp_eq_u32_e32 vcc, s19, v8
	v_cndmask_b32_e32 v7, v12, v7, vcc
	v_cmp_ne_u32_e32 vcc, 0, v7
	v_cndmask_b32_e64 v7, v13, v11, s[0:1]
	v_cndmask_b32_e32 v8, v9, v10, vcc
	v_cndmask_b32_e32 v7, v4, v7, vcc
.LBB0_4:                                ;   in Loop: Header=BB0_2 Depth=1
	s_andn2_saveexec_b64 s[0:1], s[20:21]
	s_cbranch_execz .LBB0_6
; %bb.5:                                ;   in Loop: Header=BB0_2 Depth=1
	v_cvt_f32_u32_e32 v4, s18
	s_sub_i32 s20, 0, s18
	v_rcp_iflag_f32_e32 v4, v4
	v_mul_f32_e32 v4, 0x4f7ffffe, v4
	v_cvt_u32_f32_e32 v4, v4
	v_mul_lo_u32 v7, s20, v4
	v_mul_hi_u32 v7, v4, v7
	v_add_u32_e32 v4, v4, v7
	v_mul_hi_u32 v4, v5, v4
	v_mul_lo_u32 v7, v4, s18
	v_add_u32_e32 v8, 1, v4
	v_sub_u32_e32 v7, v5, v7
	v_subrev_u32_e32 v9, s18, v7
	v_cmp_le_u32_e32 vcc, s18, v7
	v_cndmask_b32_e32 v7, v7, v9, vcc
	v_cndmask_b32_e32 v4, v4, v8, vcc
	v_add_u32_e32 v8, 1, v4
	v_cmp_le_u32_e32 vcc, s18, v7
	v_cndmask_b32_e32 v7, v4, v8, vcc
	v_mov_b32_e32 v8, v3
.LBB0_6:                                ;   in Loop: Header=BB0_2 Depth=1
	s_or_b64 exec, exec, s[0:1]
	v_mul_lo_u32 v4, v8, s18
	v_mul_lo_u32 v11, v7, s19
	v_mad_u64_u32 v[9:10], s[0:1], v7, s18, 0
	s_load_dwordx2 s[0:1], s[6:7], 0x0
	s_add_u32 s16, s16, 1
	v_add3_u32 v4, v10, v11, v4
	v_sub_co_u32_e32 v5, vcc, v5, v9
	v_subb_co_u32_e32 v4, vcc, v6, v4, vcc
	s_waitcnt lgkmcnt(0)
	v_mul_lo_u32 v4, s0, v4
	v_mul_lo_u32 v6, s1, v5
	v_mad_u64_u32 v[1:2], s[0:1], s0, v5, v[1:2]
	s_addc_u32 s17, s17, 0
	s_add_u32 s6, s6, 8
	v_add3_u32 v2, v6, v2, v4
	v_mov_b32_e32 v4, s10
	v_mov_b32_e32 v5, s11
	s_addc_u32 s7, s7, 0
	v_cmp_ge_u64_e32 vcc, s[16:17], v[4:5]
	s_add_u32 s14, s14, 8
	s_addc_u32 s15, s15, 0
	s_cbranch_vccnz .LBB0_9
; %bb.7:                                ;   in Loop: Header=BB0_2 Depth=1
	v_mov_b32_e32 v5, v7
	v_mov_b32_e32 v6, v8
	s_branch .LBB0_2
.LBB0_8:
	v_mov_b32_e32 v8, v6
	v_mov_b32_e32 v7, v5
.LBB0_9:
	s_lshl_b64 s[0:1], s[10:11], 3
	s_add_u32 s0, s12, s0
	s_addc_u32 s1, s13, s1
	s_load_dwordx2 s[6:7], s[0:1], 0x0
	s_load_dwordx2 s[10:11], s[4:5], 0x20
	s_waitcnt lgkmcnt(0)
	v_mad_u64_u32 v[1:2], s[0:1], s6, v7, v[1:2]
	v_mul_lo_u32 v3, s6, v8
	v_mul_lo_u32 v4, s7, v7
	s_mov_b32 s0, 0x4104105
	v_mul_hi_u32 v5, v0, s0
	v_cmp_gt_u64_e32 vcc, s[10:11], v[7:8]
	v_add3_u32 v2, v4, v2, v3
	v_lshlrev_b64 v[26:27], 4, v[1:2]
	v_mul_u32_u24_e32 v3, 63, v5
	v_sub_u32_e32 v24, v0, v3
	s_and_saveexec_b64 s[4:5], vcc
	s_cbranch_execz .LBB0_13
; %bb.10:
	v_mov_b32_e32 v25, 0
	v_mov_b32_e32 v1, s3
	v_add_co_u32_e64 v0, s[0:1], s2, v26
	v_lshlrev_b64 v[2:3], 4, v[24:25]
	v_addc_co_u32_e64 v1, s[0:1], v1, v27, s[0:1]
	v_add_co_u32_e64 v18, s[0:1], v0, v2
	v_addc_co_u32_e64 v19, s[0:1], v1, v3, s[0:1]
	global_load_dwordx4 v[2:5], v[18:19], off
	global_load_dwordx4 v[6:9], v[18:19], off offset:1008
	global_load_dwordx4 v[10:13], v[18:19], off offset:2016
	;; [unrolled: 1-line block ×3, first 2 shown]
	v_lshl_add_u32 v18, v24, 4, 0
	v_cmp_eq_u32_e64 s[0:1], 62, v24
	s_waitcnt vmcnt(3)
	ds_write_b128 v18, v[2:5]
	s_waitcnt vmcnt(2)
	ds_write_b128 v18, v[6:9] offset:1008
	s_waitcnt vmcnt(1)
	ds_write_b128 v18, v[10:13] offset:2016
	;; [unrolled: 2-line block ×3, first 2 shown]
	s_and_saveexec_b64 s[6:7], s[0:1]
	s_cbranch_execz .LBB0_12
; %bb.11:
	global_load_dwordx4 v[0:3], v[0:1], off offset:4032
	v_mov_b32_e32 v24, 62
	s_waitcnt vmcnt(0)
	ds_write_b128 v25, v[0:3] offset:4032
.LBB0_12:
	s_or_b64 exec, exec, s[6:7]
.LBB0_13:
	s_or_b64 exec, exec, s[4:5]
	v_lshlrev_b32_e32 v0, 4, v24
	v_add_u32_e32 v52, 0, v0
	s_waitcnt lgkmcnt(0)
	; wave barrier
	s_waitcnt lgkmcnt(0)
	v_sub_u32_e32 v10, 0, v0
	ds_read_b64 v[6:7], v52
	ds_read_b64 v[8:9], v10 offset:4032
	v_cmp_ne_u32_e64 s[0:1], 0, v24
                                        ; implicit-def: $vgpr4_vgpr5
	s_waitcnt lgkmcnt(0)
	v_add_f64 v[0:1], v[6:7], v[8:9]
	v_add_f64 v[2:3], v[6:7], -v[8:9]
	s_and_saveexec_b64 s[4:5], s[0:1]
	s_xor_b64 s[4:5], exec, s[4:5]
	s_cbranch_execz .LBB0_15
; %bb.14:
	v_mov_b32_e32 v25, 0
	v_lshlrev_b64 v[0:1], 4, v[24:25]
	v_mov_b32_e32 v2, s9
	v_add_co_u32_e64 v0, s[0:1], s8, v0
	v_addc_co_u32_e64 v1, s[0:1], v2, v1, s[0:1]
	global_load_dwordx4 v[2:5], v[0:1], off offset:3920
	ds_read_b64 v[0:1], v10 offset:4040
	ds_read_b64 v[11:12], v52 offset:8
	v_add_f64 v[13:14], v[6:7], v[8:9]
	v_add_f64 v[8:9], v[6:7], -v[8:9]
	s_waitcnt lgkmcnt(0)
	v_add_f64 v[15:16], v[0:1], v[11:12]
	v_add_f64 v[0:1], v[11:12], -v[0:1]
	s_waitcnt vmcnt(0)
	v_fma_f64 v[6:7], -v[8:9], v[4:5], v[13:14]
	v_fma_f64 v[11:12], v[15:16], v[4:5], -v[0:1]
	v_fma_f64 v[13:14], v[8:9], v[4:5], v[13:14]
	v_fma_f64 v[17:18], v[15:16], v[4:5], v[0:1]
	;; [unrolled: 1-line block ×4, first 2 shown]
	v_fma_f64 v[0:1], -v[15:16], v[2:3], v[13:14]
	v_fma_f64 v[2:3], v[8:9], v[2:3], v[17:18]
	ds_write_b128 v10, v[4:7] offset:4032
	v_mov_b32_e32 v4, v24
	v_mov_b32_e32 v5, v25
.LBB0_15:
	s_andn2_saveexec_b64 s[0:1], s[4:5]
	s_cbranch_execz .LBB0_17
; %bb.16:
	v_mov_b32_e32 v8, 0
	ds_read_b128 v[4:7], v8 offset:2016
	s_waitcnt lgkmcnt(0)
	v_add_f64 v[11:12], v[4:5], v[4:5]
	v_mul_f64 v[13:14], v[6:7], -2.0
	v_mov_b32_e32 v4, 0
	v_mov_b32_e32 v5, 0
	ds_write_b128 v8, v[11:14] offset:2016
.LBB0_17:
	s_or_b64 exec, exec, s[0:1]
	s_add_u32 s0, s8, 0xf50
	v_lshlrev_b64 v[4:5], 4, v[4:5]
	s_addc_u32 s1, s9, 0
	v_mov_b32_e32 v6, s1
	v_add_co_u32_e64 v4, s[0:1], s0, v4
	v_addc_co_u32_e64 v5, s[0:1], v6, v5, s[0:1]
	global_load_dwordx4 v[4:7], v[4:5], off offset:1008
	ds_write_b128 v52, v[0:3]
	ds_read_b128 v[0:3], v52 offset:1008
	ds_read_b128 v[11:14], v10 offset:3024
	s_mov_b32 s0, 0x36b3c0b5
	s_mov_b32 s1, 0x3fac98ee
	;; [unrolled: 1-line block ×4, first 2 shown]
	s_waitcnt lgkmcnt(0)
	v_add_f64 v[8:9], v[0:1], v[11:12]
	v_add_f64 v[15:16], v[13:14], v[2:3]
	v_add_f64 v[11:12], v[0:1], -v[11:12]
	v_add_f64 v[0:1], v[2:3], -v[13:14]
	s_mov_b32 s18, 0x37e14327
	s_mov_b32 s7, 0x3fe11646
	;; [unrolled: 1-line block ×12, first 2 shown]
	s_waitcnt vmcnt(0)
	v_fma_f64 v[2:3], v[11:12], v[6:7], v[8:9]
	v_fma_f64 v[13:14], v[15:16], v[6:7], v[0:1]
	v_fma_f64 v[8:9], -v[11:12], v[6:7], v[8:9]
	v_fma_f64 v[17:18], v[15:16], v[6:7], -v[0:1]
	v_fma_f64 v[0:1], -v[15:16], v[4:5], v[2:3]
	v_fma_f64 v[2:3], v[11:12], v[4:5], v[13:14]
	v_fma_f64 v[6:7], v[15:16], v[4:5], v[8:9]
	;; [unrolled: 1-line block ×3, first 2 shown]
	ds_write_b128 v52, v[0:3] offset:1008
	ds_write_b128 v10, v[6:9] offset:3024
	s_waitcnt lgkmcnt(0)
	; wave barrier
	s_waitcnt lgkmcnt(0)
	s_waitcnt lgkmcnt(0)
	; wave barrier
	s_waitcnt lgkmcnt(0)
	ds_read_b128 v[0:3], v52 offset:576
	ds_read_b128 v[4:7], v52 offset:3456
	;; [unrolled: 1-line block ×6, first 2 shown]
	ds_read_b128 v[38:41], v52
	s_waitcnt lgkmcnt(5)
	v_add_f64 v[28:29], v[0:1], v[4:5]
	v_add_f64 v[30:31], v[2:3], v[6:7]
	s_waitcnt lgkmcnt(2)
	v_add_f64 v[32:33], v[8:9], v[16:17]
	v_add_f64 v[34:35], v[10:11], v[18:19]
	v_add_f64 v[0:1], v[0:1], -v[4:5]
	v_add_f64 v[2:3], v[2:3], -v[6:7]
	;; [unrolled: 1-line block ×3, first 2 shown]
	s_waitcnt lgkmcnt(1)
	v_add_f64 v[6:7], v[12:13], v[20:21]
	v_add_f64 v[8:9], v[10:11], -v[18:19]
	v_add_f64 v[10:11], v[14:15], v[22:23]
	v_add_f64 v[12:13], v[20:21], -v[12:13]
	v_add_f64 v[14:15], v[22:23], -v[14:15]
	v_add_f64 v[16:17], v[32:33], v[28:29]
	v_add_f64 v[18:19], v[34:35], v[30:31]
	v_add_f64 v[42:43], v[32:33], -v[28:29]
	v_add_f64 v[22:23], v[6:7], -v[32:33]
	;; [unrolled: 1-line block ×4, first 2 shown]
	v_add_f64 v[34:35], v[12:13], v[4:5]
	v_add_f64 v[20:21], v[12:13], -v[4:5]
	v_add_f64 v[4:5], v[4:5], -v[0:1]
	v_add_f64 v[36:37], v[14:15], v[8:9]
	v_add_f64 v[46:47], v[14:15], -v[8:9]
	v_add_f64 v[8:9], v[8:9], -v[2:3]
	;; [unrolled: 1-line block ×4, first 2 shown]
	v_add_f64 v[6:7], v[6:7], v[16:17]
	v_add_f64 v[10:11], v[10:11], v[18:19]
	v_mul_f64 v[16:17], v[22:23], s[0:1]
	v_mul_f64 v[32:33], v[32:33], s[0:1]
	v_add_f64 v[28:29], v[0:1], -v[12:13]
	v_add_f64 v[30:31], v[2:3], -v[14:15]
	v_mul_f64 v[20:21], v[20:21], s[6:7]
	v_add_f64 v[34:35], v[34:35], v[0:1]
	v_add_f64 v[36:37], v[36:37], v[2:3]
	v_mul_f64 v[18:19], v[46:47], s[6:7]
	v_mul_f64 v[0:1], v[4:5], s[10:11]
	;; [unrolled: 1-line block ×4, first 2 shown]
	s_waitcnt lgkmcnt(0)
	v_add_f64 v[12:13], v[38:39], v[6:7]
	v_add_f64 v[14:15], v[40:41], v[10:11]
	v_mul_f64 v[46:47], v[50:51], s[18:19]
	v_fma_f64 v[48:49], v[42:43], s[14:15], -v[16:17]
	v_fma_f64 v[50:51], v[44:45], s[14:15], -v[32:33]
	s_mov_b32 s15, 0xbfe77f67
	v_fma_f64 v[4:5], v[4:5], s[10:11], -v[20:21]
	v_fma_f64 v[8:9], v[8:9], s[10:11], -v[18:19]
	v_fma_f64 v[38:39], v[6:7], s[12:13], v[12:13]
	v_fma_f64 v[40:41], v[10:11], s[12:13], v[14:15]
	v_fma_f64 v[0:1], v[28:29], s[16:17], -v[0:1]
	v_fma_f64 v[2:3], v[30:31], s[16:17], -v[2:3]
	;; [unrolled: 1-line block ×4, first 2 shown]
	v_fma_f64 v[53:54], v[34:35], s[4:5], v[4:5]
	v_fma_f64 v[4:5], v[36:37], s[4:5], v[8:9]
	v_add_f64 v[8:9], v[48:49], v[38:39]
	v_add_f64 v[55:56], v[50:51], v[40:41]
	v_fma_f64 v[48:49], v[34:35], s[4:5], v[0:1]
	v_fma_f64 v[42:43], v[36:37], s[4:5], v[2:3]
	v_add_f64 v[44:45], v[6:7], v[38:39]
	v_add_f64 v[50:51], v[10:11], v[40:41]
	v_cmp_gt_u32_e64 s[0:1], 36, v24
	v_add_f64 v[0:1], v[8:9], -v[4:5]
	v_add_f64 v[2:3], v[53:54], v[55:56]
	v_add_f64 v[4:5], v[8:9], v[4:5]
	v_add_f64 v[6:7], v[55:56], -v[53:54]
	v_add_f64 v[8:9], v[44:45], -v[42:43]
	v_add_f64 v[10:11], v[48:49], v[50:51]
	; wave barrier
	s_and_saveexec_b64 s[6:7], s[0:1]
	s_cbranch_execz .LBB0_19
; %bb.18:
	s_mov_b32 s17, 0xbfd5d0dc
	v_mul_f64 v[28:29], v[28:29], s[16:17]
	v_mul_f64 v[30:31], v[30:31], s[16:17]
	;; [unrolled: 1-line block ×4, first 2 shown]
	v_add_f64 v[32:33], v[32:33], v[46:47]
	v_add_f64 v[16:17], v[16:17], v[22:23]
	s_movk_i32 s0, 0x60
	v_mad_u32_u24 v25, v24, s0, v52
	v_add_f64 v[20:21], v[20:21], v[28:29]
	v_add_f64 v[18:19], v[18:19], v[30:31]
	;; [unrolled: 1-line block ×7, first 2 shown]
	v_add_f64 v[18:19], v[50:51], -v[48:49]
	v_add_f64 v[22:23], v[20:21], v[28:29]
	v_add_f64 v[30:31], v[28:29], -v[20:21]
	v_add_f64 v[28:29], v[32:33], v[34:35]
	v_add_f64 v[20:21], v[32:33], -v[34:35]
	ds_write_b128 v25, v[12:15]
	ds_write_b128 v25, v[0:3] offset:48
	ds_write_b128 v25, v[4:7] offset:64
	;; [unrolled: 1-line block ×6, first 2 shown]
.LBB0_19:
	s_or_b64 exec, exec, s[6:7]
	s_waitcnt lgkmcnt(0)
	; wave barrier
	s_waitcnt lgkmcnt(0)
	ds_read_b128 v[12:15], v52
	ds_read_b128 v[20:23], v52 offset:1344
	ds_read_b128 v[16:19], v52 offset:2688
	v_cmp_gt_u32_e64 s[0:1], 21, v24
	s_and_saveexec_b64 s[4:5], s[0:1]
	s_cbranch_execz .LBB0_21
; %bb.20:
	ds_read_b128 v[0:3], v52 offset:1008
	ds_read_b128 v[4:7], v52 offset:2352
	;; [unrolled: 1-line block ×3, first 2 shown]
.LBB0_21:
	s_or_b64 exec, exec, s[4:5]
	v_mov_b32_e32 v28, 37
	v_mul_lo_u16_sdwa v25, v24, v28 dst_sel:DWORD dst_unused:UNUSED_PAD src0_sel:BYTE_0 src1_sel:DWORD
	v_sub_u16_sdwa v29, v24, v25 dst_sel:DWORD dst_unused:UNUSED_PAD src0_sel:DWORD src1_sel:BYTE_1
	v_lshrrev_b16_e32 v29, 1, v29
	v_and_b32_e32 v29, 0x7f, v29
	v_add_u16_sdwa v25, v29, v25 dst_sel:DWORD dst_unused:UNUSED_PAD src0_sel:DWORD src1_sel:BYTE_1
	v_lshrrev_b16_e32 v51, 2, v25
	v_mul_lo_u16_e32 v25, 7, v51
	v_sub_u16_e32 v55, v24, v25
	v_mov_b32_e32 v30, 5
	v_lshlrev_b32_sdwa v25, v30, v55 dst_sel:DWORD dst_unused:UNUSED_PAD src0_sel:DWORD src1_sel:BYTE_0
	global_load_dwordx4 v[31:34], v25, s[8:9] offset:16
	global_load_dwordx4 v[35:38], v25, s[8:9]
	v_add_u16_e32 v25, 63, v24
	v_mul_lo_u16_sdwa v28, v25, v28 dst_sel:DWORD dst_unused:UNUSED_PAD src0_sel:BYTE_0 src1_sel:DWORD
	v_sub_u16_sdwa v29, v25, v28 dst_sel:DWORD dst_unused:UNUSED_PAD src0_sel:DWORD src1_sel:BYTE_1
	v_lshrrev_b16_e32 v29, 1, v29
	v_and_b32_e32 v29, 0x7f, v29
	v_add_u16_sdwa v28, v29, v28 dst_sel:DWORD dst_unused:UNUSED_PAD src0_sel:DWORD src1_sel:BYTE_1
	v_lshrrev_b16_e32 v28, 2, v28
	v_mul_lo_u16_e32 v29, 7, v28
	v_sub_u16_e32 v29, v25, v29
	v_lshlrev_b32_sdwa v30, v30, v29 dst_sel:DWORD dst_unused:UNUSED_PAD src0_sel:DWORD src1_sel:BYTE_0
	global_load_dwordx4 v[39:42], v30, s[8:9]
	global_load_dwordx4 v[43:46], v30, s[8:9] offset:16
	s_mov_b32 s4, 0xe8584caa
	s_mov_b32 s5, 0xbfebb67a
	;; [unrolled: 1-line block ×4, first 2 shown]
	v_mov_b32_e32 v30, 4
	s_waitcnt lgkmcnt(0)
	; wave barrier
	s_waitcnt vmcnt(3) lgkmcnt(0)
	v_mul_f64 v[49:50], v[18:19], v[33:34]
	s_waitcnt vmcnt(2)
	v_mul_f64 v[47:48], v[22:23], v[37:38]
	v_mul_f64 v[37:38], v[20:21], v[37:38]
	;; [unrolled: 1-line block ×3, first 2 shown]
	v_fma_f64 v[16:17], v[16:17], v[31:32], v[49:50]
	v_fma_f64 v[20:21], v[20:21], v[35:36], v[47:48]
	v_fma_f64 v[22:23], v[22:23], v[35:36], -v[37:38]
	s_waitcnt vmcnt(1)
	v_mul_f64 v[53:54], v[6:7], v[41:42]
	v_mul_f64 v[41:42], v[4:5], v[41:42]
	s_waitcnt vmcnt(0)
	v_mul_f64 v[35:36], v[10:11], v[45:46]
	v_mul_f64 v[37:38], v[8:9], v[45:46]
	v_fma_f64 v[18:19], v[18:19], v[31:32], -v[33:34]
	v_mul_u32_u24_e32 v49, 0x150, v51
	v_add_f64 v[31:32], v[12:13], v[20:21]
	v_add_f64 v[33:34], v[20:21], v[16:17]
	v_fma_f64 v[4:5], v[4:5], v[39:40], v[53:54]
	v_fma_f64 v[6:7], v[6:7], v[39:40], -v[41:42]
	v_fma_f64 v[8:9], v[8:9], v[43:44], v[35:36]
	v_fma_f64 v[10:11], v[10:11], v[43:44], -v[37:38]
	v_add_f64 v[35:36], v[22:23], -v[18:19]
	v_add_f64 v[37:38], v[14:15], v[22:23]
	v_add_f64 v[22:23], v[22:23], v[18:19]
	v_add_f64 v[39:40], v[20:21], -v[16:17]
	v_add_f64 v[20:21], v[0:1], v[4:5]
	v_add_f64 v[45:46], v[2:3], v[6:7]
	;; [unrolled: 1-line block ×3, first 2 shown]
	v_add_f64 v[43:44], v[6:7], -v[10:11]
	v_add_f64 v[6:7], v[6:7], v[10:11]
	v_add_f64 v[47:48], v[4:5], -v[8:9]
	v_fma_f64 v[4:5], v[33:34], -0.5, v[12:13]
	v_add_f64 v[12:13], v[31:32], v[16:17]
	v_fma_f64 v[22:23], v[22:23], -0.5, v[14:15]
	v_add_f64 v[14:15], v[37:38], v[18:19]
	;; [unrolled: 2-line block ×4, first 2 shown]
	v_fma_f64 v[16:17], v[35:36], s[4:5], v[4:5]
	v_fma_f64 v[20:21], v[35:36], s[6:7], v[4:5]
	;; [unrolled: 1-line block ×8, first 2 shown]
	v_lshlrev_b32_sdwa v31, v30, v55 dst_sel:DWORD dst_unused:UNUSED_PAD src0_sel:DWORD src1_sel:BYTE_0
	v_add3_u32 v31, 0, v49, v31
	ds_write_b128 v31, v[12:15]
	ds_write_b128 v31, v[16:19] offset:112
	ds_write_b128 v31, v[20:23] offset:224
	s_and_saveexec_b64 s[4:5], s[0:1]
	s_cbranch_execz .LBB0_23
; %bb.22:
	v_mul_u32_u24_e32 v12, 0x150, v28
	v_lshlrev_b32_sdwa v13, v30, v29 dst_sel:DWORD dst_unused:UNUSED_PAD src0_sel:DWORD src1_sel:BYTE_0
	v_add3_u32 v12, 0, v12, v13
	ds_write_b128 v12, v[0:3]
	ds_write_b128 v12, v[4:7] offset:112
	ds_write_b128 v12, v[8:11] offset:224
.LBB0_23:
	s_or_b64 exec, exec, s[4:5]
	s_waitcnt lgkmcnt(0)
	; wave barrier
	s_waitcnt lgkmcnt(0)
	ds_read_b128 v[12:15], v52
	ds_read_b128 v[20:23], v52 offset:1344
	ds_read_b128 v[16:19], v52 offset:2688
	s_and_saveexec_b64 s[4:5], s[0:1]
	s_cbranch_execz .LBB0_25
; %bb.24:
	ds_read_b128 v[0:3], v52 offset:1008
	ds_read_b128 v[4:7], v52 offset:2352
	;; [unrolled: 1-line block ×3, first 2 shown]
.LBB0_25:
	s_or_b64 exec, exec, s[4:5]
	s_movk_i32 s12, 0x87
	v_mul_lo_u16_sdwa v28, v24, s12 dst_sel:DWORD dst_unused:UNUSED_PAD src0_sel:BYTE_0 src1_sel:DWORD
	v_sub_u16_sdwa v29, v24, v28 dst_sel:DWORD dst_unused:UNUSED_PAD src0_sel:DWORD src1_sel:BYTE_1
	v_lshrrev_b16_e32 v29, 1, v29
	v_and_b32_e32 v29, 0x7f, v29
	v_add_u16_sdwa v28, v29, v28 dst_sel:DWORD dst_unused:UNUSED_PAD src0_sel:DWORD src1_sel:BYTE_1
	v_lshrrev_b16_e32 v28, 4, v28
	v_and_b32_e32 v40, 15, v28
	v_mul_lo_u16_e32 v28, 21, v40
	v_sub_u16_e32 v41, v24, v28
	v_mov_b32_e32 v28, 5
	v_lshlrev_b32_sdwa v36, v28, v41 dst_sel:DWORD dst_unused:UNUSED_PAD src0_sel:DWORD src1_sel:BYTE_0
	global_load_dwordx4 v[28:31], v36, s[8:9] offset:224
	global_load_dwordx4 v[32:35], v36, s[8:9] offset:240
	s_mov_b32 s4, 0xe8584caa
	s_mov_b32 s5, 0xbfebb67a
	;; [unrolled: 1-line block ×3, first 2 shown]
	s_movk_i32 s10, 0x3f0
	s_waitcnt lgkmcnt(0)
	; wave barrier
	s_waitcnt vmcnt(1) lgkmcnt(0)
	v_mul_f64 v[36:37], v[22:23], v[30:31]
	v_mul_f64 v[30:31], v[20:21], v[30:31]
	s_waitcnt vmcnt(0)
	v_mul_f64 v[38:39], v[18:19], v[34:35]
	v_mul_f64 v[34:35], v[16:17], v[34:35]
	v_fma_f64 v[20:21], v[20:21], v[28:29], v[36:37]
	v_fma_f64 v[22:23], v[22:23], v[28:29], -v[30:31]
	v_fma_f64 v[16:17], v[16:17], v[32:33], v[38:39]
	v_fma_f64 v[18:19], v[18:19], v[32:33], -v[34:35]
	v_mov_b32_e32 v38, 4
	v_add_f64 v[32:33], v[12:13], v[20:21]
	v_add_f64 v[28:29], v[20:21], v[16:17]
	;; [unrolled: 1-line block ×3, first 2 shown]
	v_add_f64 v[34:35], v[22:23], -v[18:19]
	v_add_f64 v[22:23], v[14:15], v[22:23]
	v_add_f64 v[36:37], v[20:21], -v[16:17]
	v_fma_f64 v[28:29], v[28:29], -0.5, v[12:13]
	v_fma_f64 v[30:31], v[30:31], -0.5, v[14:15]
	v_add_f64 v[12:13], v[32:33], v[16:17]
	v_add_f64 v[14:15], v[22:23], v[18:19]
	v_fma_f64 v[16:17], v[34:35], s[4:5], v[28:29]
	v_fma_f64 v[18:19], v[36:37], s[6:7], v[30:31]
	;; [unrolled: 1-line block ×4, first 2 shown]
	v_mul_u32_u24_sdwa v28, v40, s10 dst_sel:DWORD dst_unused:UNUSED_PAD src0_sel:WORD_0 src1_sel:DWORD
	v_lshlrev_b32_sdwa v29, v38, v41 dst_sel:DWORD dst_unused:UNUSED_PAD src0_sel:DWORD src1_sel:BYTE_0
	v_add3_u32 v28, 0, v28, v29
	ds_write_b128 v28, v[12:15]
	ds_write_b128 v28, v[16:19] offset:336
	ds_write_b128 v28, v[20:23] offset:672
	s_and_saveexec_b64 s[10:11], s[0:1]
	s_cbranch_execz .LBB0_27
; %bb.26:
	v_mul_lo_u16_sdwa v12, v25, s12 dst_sel:DWORD dst_unused:UNUSED_PAD src0_sel:BYTE_0 src1_sel:DWORD
	v_sub_u16_sdwa v13, v25, v12 dst_sel:DWORD dst_unused:UNUSED_PAD src0_sel:DWORD src1_sel:BYTE_1
	v_lshrrev_b16_e32 v13, 1, v13
	v_and_b32_e32 v13, 0x7f, v13
	v_add_u16_sdwa v12, v13, v12 dst_sel:DWORD dst_unused:UNUSED_PAD src0_sel:DWORD src1_sel:BYTE_1
	v_lshrrev_b16_e32 v12, 4, v12
	v_and_b32_e32 v12, 15, v12
	v_mul_lo_u16_e32 v12, 21, v12
	v_sub_u16_e32 v12, v25, v12
	v_and_b32_e32 v25, 0xff, v12
	v_lshlrev_b32_e32 v20, 5, v25
	global_load_dwordx4 v[12:15], v20, s[8:9] offset:224
	global_load_dwordx4 v[16:19], v20, s[8:9] offset:240
	s_waitcnt vmcnt(1)
	v_mul_f64 v[20:21], v[4:5], v[14:15]
	s_waitcnt vmcnt(0)
	v_mul_f64 v[22:23], v[8:9], v[18:19]
	v_mul_f64 v[14:15], v[6:7], v[14:15]
	;; [unrolled: 1-line block ×3, first 2 shown]
	v_fma_f64 v[6:7], v[6:7], v[12:13], -v[20:21]
	v_fma_f64 v[10:11], v[10:11], v[16:17], -v[22:23]
	v_fma_f64 v[4:5], v[4:5], v[12:13], v[14:15]
	v_fma_f64 v[8:9], v[8:9], v[16:17], v[18:19]
	v_add_f64 v[18:19], v[2:3], v[6:7]
	v_add_f64 v[12:13], v[6:7], v[10:11]
	v_add_f64 v[20:21], v[6:7], -v[10:11]
	v_add_f64 v[14:15], v[4:5], v[8:9]
	v_add_f64 v[16:17], v[4:5], -v[8:9]
	v_add_f64 v[4:5], v[0:1], v[4:5]
	v_fma_f64 v[12:13], v[12:13], -0.5, v[2:3]
	v_add_f64 v[2:3], v[18:19], v[10:11]
	v_fma_f64 v[14:15], v[14:15], -0.5, v[0:1]
	v_add_f64 v[0:1], v[4:5], v[8:9]
	v_fma_f64 v[10:11], v[16:17], s[6:7], v[12:13]
	v_fma_f64 v[6:7], v[16:17], s[4:5], v[12:13]
	;; [unrolled: 1-line block ×4, first 2 shown]
	v_lshl_add_u32 v12, v25, 4, 0
	ds_write_b128 v12, v[0:3] offset:3024
	ds_write_b128 v12, v[8:11] offset:3360
	;; [unrolled: 1-line block ×3, first 2 shown]
.LBB0_27:
	s_or_b64 exec, exec, s[10:11]
	v_mul_u32_u24_e32 v0, 3, v24
	v_lshlrev_b32_e32 v12, 4, v0
	s_waitcnt lgkmcnt(0)
	; wave barrier
	s_waitcnt lgkmcnt(0)
	global_load_dwordx4 v[0:3], v12, s[8:9] offset:896
	global_load_dwordx4 v[4:7], v12, s[8:9] offset:912
	;; [unrolled: 1-line block ×3, first 2 shown]
	ds_read_b128 v[12:15], v52 offset:1008
	ds_read_b128 v[16:19], v52 offset:2016
	;; [unrolled: 1-line block ×3, first 2 shown]
	ds_read_b128 v[28:31], v52
	s_waitcnt lgkmcnt(0)
	; wave barrier
	s_waitcnt vmcnt(2) lgkmcnt(0)
	v_mul_f64 v[32:33], v[14:15], v[2:3]
	v_mul_f64 v[2:3], v[12:13], v[2:3]
	s_waitcnt vmcnt(1)
	v_mul_f64 v[34:35], v[18:19], v[6:7]
	v_mul_f64 v[6:7], v[16:17], v[6:7]
	s_waitcnt vmcnt(0)
	v_mul_f64 v[36:37], v[22:23], v[10:11]
	v_mul_f64 v[10:11], v[20:21], v[10:11]
	v_fma_f64 v[12:13], v[12:13], v[0:1], v[32:33]
	v_fma_f64 v[0:1], v[14:15], v[0:1], -v[2:3]
	v_fma_f64 v[2:3], v[16:17], v[4:5], v[34:35]
	v_fma_f64 v[4:5], v[18:19], v[4:5], -v[6:7]
	;; [unrolled: 2-line block ×3, first 2 shown]
	v_add_f64 v[10:11], v[28:29], -v[2:3]
	v_add_f64 v[14:15], v[30:31], -v[4:5]
	;; [unrolled: 1-line block ×4, first 2 shown]
	v_fma_f64 v[16:17], v[28:29], 2.0, -v[10:11]
	v_fma_f64 v[18:19], v[30:31], 2.0, -v[14:15]
	;; [unrolled: 1-line block ×4, first 2 shown]
	v_add_f64 v[0:1], v[10:11], v[4:5]
	v_add_f64 v[2:3], v[14:15], -v[2:3]
	v_add_f64 v[4:5], v[16:17], -v[6:7]
	;; [unrolled: 1-line block ×3, first 2 shown]
	v_fma_f64 v[8:9], v[10:11], 2.0, -v[0:1]
	v_fma_f64 v[10:11], v[14:15], 2.0, -v[2:3]
	;; [unrolled: 1-line block ×4, first 2 shown]
	ds_write_b128 v52, v[0:3] offset:3024
	ds_write_b128 v52, v[8:11] offset:1008
	;; [unrolled: 1-line block ×3, first 2 shown]
	ds_write_b128 v52, v[12:15]
	s_waitcnt lgkmcnt(0)
	; wave barrier
	s_waitcnt lgkmcnt(0)
	s_and_saveexec_b64 s[0:1], vcc
	s_cbranch_execz .LBB0_29
; %bb.28:
	v_lshl_add_u32 v10, v24, 4, 0
	v_mov_b32_e32 v25, 0
	ds_read_b128 v[0:3], v10
	v_mov_b32_e32 v4, s3
	v_add_co_u32_e32 v11, vcc, s2, v26
	v_addc_co_u32_e32 v12, vcc, v4, v27, vcc
	v_lshlrev_b64 v[4:5], 4, v[24:25]
	v_add_co_u32_e32 v8, vcc, v11, v4
	v_addc_co_u32_e32 v9, vcc, v12, v5, vcc
	ds_read_b128 v[4:7], v10 offset:1008
	s_waitcnt lgkmcnt(1)
	global_store_dwordx4 v[8:9], v[0:3], off
	s_nop 0
	v_add_u32_e32 v0, 63, v24
	v_mov_b32_e32 v1, v25
	v_lshlrev_b64 v[0:1], 4, v[0:1]
	v_add_co_u32_e32 v0, vcc, v11, v0
	v_addc_co_u32_e32 v1, vcc, v12, v1, vcc
	s_waitcnt lgkmcnt(0)
	global_store_dwordx4 v[0:1], v[4:7], off
	ds_read_b128 v[0:3], v10 offset:2016
	v_add_u32_e32 v4, 0x7e, v24
	v_mov_b32_e32 v5, v25
	v_lshlrev_b64 v[4:5], 4, v[4:5]
	v_add_u32_e32 v24, 0xbd, v24
	v_add_co_u32_e32 v8, vcc, v11, v4
	v_addc_co_u32_e32 v9, vcc, v12, v5, vcc
	ds_read_b128 v[4:7], v10 offset:3024
	s_waitcnt lgkmcnt(1)
	global_store_dwordx4 v[8:9], v[0:3], off
	s_nop 0
	v_lshlrev_b64 v[0:1], 4, v[24:25]
	v_add_co_u32_e32 v0, vcc, v11, v0
	v_addc_co_u32_e32 v1, vcc, v12, v1, vcc
	s_waitcnt lgkmcnt(0)
	global_store_dwordx4 v[0:1], v[4:7], off
.LBB0_29:
	s_endpgm
	.section	.rodata,"a",@progbits
	.p2align	6, 0x0
	.amdhsa_kernel fft_rtc_back_len252_factors_7_3_3_4_wgs_63_tpt_63_dp_ip_CI_unitstride_sbrr_C2R_dirReg
		.amdhsa_group_segment_fixed_size 0
		.amdhsa_private_segment_fixed_size 0
		.amdhsa_kernarg_size 88
		.amdhsa_user_sgpr_count 6
		.amdhsa_user_sgpr_private_segment_buffer 1
		.amdhsa_user_sgpr_dispatch_ptr 0
		.amdhsa_user_sgpr_queue_ptr 0
		.amdhsa_user_sgpr_kernarg_segment_ptr 1
		.amdhsa_user_sgpr_dispatch_id 0
		.amdhsa_user_sgpr_flat_scratch_init 0
		.amdhsa_user_sgpr_private_segment_size 0
		.amdhsa_uses_dynamic_stack 0
		.amdhsa_system_sgpr_private_segment_wavefront_offset 0
		.amdhsa_system_sgpr_workgroup_id_x 1
		.amdhsa_system_sgpr_workgroup_id_y 0
		.amdhsa_system_sgpr_workgroup_id_z 0
		.amdhsa_system_sgpr_workgroup_info 0
		.amdhsa_system_vgpr_workitem_id 0
		.amdhsa_next_free_vgpr 57
		.amdhsa_next_free_sgpr 22
		.amdhsa_reserve_vcc 1
		.amdhsa_reserve_flat_scratch 0
		.amdhsa_float_round_mode_32 0
		.amdhsa_float_round_mode_16_64 0
		.amdhsa_float_denorm_mode_32 3
		.amdhsa_float_denorm_mode_16_64 3
		.amdhsa_dx10_clamp 1
		.amdhsa_ieee_mode 1
		.amdhsa_fp16_overflow 0
		.amdhsa_exception_fp_ieee_invalid_op 0
		.amdhsa_exception_fp_denorm_src 0
		.amdhsa_exception_fp_ieee_div_zero 0
		.amdhsa_exception_fp_ieee_overflow 0
		.amdhsa_exception_fp_ieee_underflow 0
		.amdhsa_exception_fp_ieee_inexact 0
		.amdhsa_exception_int_div_zero 0
	.end_amdhsa_kernel
	.text
.Lfunc_end0:
	.size	fft_rtc_back_len252_factors_7_3_3_4_wgs_63_tpt_63_dp_ip_CI_unitstride_sbrr_C2R_dirReg, .Lfunc_end0-fft_rtc_back_len252_factors_7_3_3_4_wgs_63_tpt_63_dp_ip_CI_unitstride_sbrr_C2R_dirReg
                                        ; -- End function
	.section	.AMDGPU.csdata,"",@progbits
; Kernel info:
; codeLenInByte = 4836
; NumSgprs: 26
; NumVgprs: 57
; ScratchSize: 0
; MemoryBound: 0
; FloatMode: 240
; IeeeMode: 1
; LDSByteSize: 0 bytes/workgroup (compile time only)
; SGPRBlocks: 3
; VGPRBlocks: 14
; NumSGPRsForWavesPerEU: 26
; NumVGPRsForWavesPerEU: 57
; Occupancy: 4
; WaveLimiterHint : 1
; COMPUTE_PGM_RSRC2:SCRATCH_EN: 0
; COMPUTE_PGM_RSRC2:USER_SGPR: 6
; COMPUTE_PGM_RSRC2:TRAP_HANDLER: 0
; COMPUTE_PGM_RSRC2:TGID_X_EN: 1
; COMPUTE_PGM_RSRC2:TGID_Y_EN: 0
; COMPUTE_PGM_RSRC2:TGID_Z_EN: 0
; COMPUTE_PGM_RSRC2:TIDIG_COMP_CNT: 0
	.type	__hip_cuid_579bccf3cd253717,@object ; @__hip_cuid_579bccf3cd253717
	.section	.bss,"aw",@nobits
	.globl	__hip_cuid_579bccf3cd253717
__hip_cuid_579bccf3cd253717:
	.byte	0                               ; 0x0
	.size	__hip_cuid_579bccf3cd253717, 1

	.ident	"AMD clang version 19.0.0git (https://github.com/RadeonOpenCompute/llvm-project roc-6.4.0 25133 c7fe45cf4b819c5991fe208aaa96edf142730f1d)"
	.section	".note.GNU-stack","",@progbits
	.addrsig
	.addrsig_sym __hip_cuid_579bccf3cd253717
	.amdgpu_metadata
---
amdhsa.kernels:
  - .args:
      - .actual_access:  read_only
        .address_space:  global
        .offset:         0
        .size:           8
        .value_kind:     global_buffer
      - .offset:         8
        .size:           8
        .value_kind:     by_value
      - .actual_access:  read_only
        .address_space:  global
        .offset:         16
        .size:           8
        .value_kind:     global_buffer
      - .actual_access:  read_only
        .address_space:  global
        .offset:         24
        .size:           8
        .value_kind:     global_buffer
      - .offset:         32
        .size:           8
        .value_kind:     by_value
      - .actual_access:  read_only
        .address_space:  global
        .offset:         40
        .size:           8
        .value_kind:     global_buffer
      - .actual_access:  read_only
        .address_space:  global
        .offset:         48
        .size:           8
        .value_kind:     global_buffer
      - .offset:         56
        .size:           4
        .value_kind:     by_value
      - .actual_access:  read_only
        .address_space:  global
        .offset:         64
        .size:           8
        .value_kind:     global_buffer
      - .actual_access:  read_only
        .address_space:  global
        .offset:         72
        .size:           8
        .value_kind:     global_buffer
      - .address_space:  global
        .offset:         80
        .size:           8
        .value_kind:     global_buffer
    .group_segment_fixed_size: 0
    .kernarg_segment_align: 8
    .kernarg_segment_size: 88
    .language:       OpenCL C
    .language_version:
      - 2
      - 0
    .max_flat_workgroup_size: 63
    .name:           fft_rtc_back_len252_factors_7_3_3_4_wgs_63_tpt_63_dp_ip_CI_unitstride_sbrr_C2R_dirReg
    .private_segment_fixed_size: 0
    .sgpr_count:     26
    .sgpr_spill_count: 0
    .symbol:         fft_rtc_back_len252_factors_7_3_3_4_wgs_63_tpt_63_dp_ip_CI_unitstride_sbrr_C2R_dirReg.kd
    .uniform_work_group_size: 1
    .uses_dynamic_stack: false
    .vgpr_count:     57
    .vgpr_spill_count: 0
    .wavefront_size: 64
amdhsa.target:   amdgcn-amd-amdhsa--gfx906
amdhsa.version:
  - 1
  - 2
...

	.end_amdgpu_metadata
